;; amdgpu-corpus repo=ROCm/rocFFT kind=compiled arch=gfx950 opt=O3
	.text
	.amdgcn_target "amdgcn-amd-amdhsa--gfx950"
	.amdhsa_code_object_version 6
	.protected	fft_rtc_fwd_len2048_factors_16_16_8_wgs_256_tpt_256_halfLds_half_op_CI_CI_unitstride_sbrr_R2C_dirReg ; -- Begin function fft_rtc_fwd_len2048_factors_16_16_8_wgs_256_tpt_256_halfLds_half_op_CI_CI_unitstride_sbrr_R2C_dirReg
	.globl	fft_rtc_fwd_len2048_factors_16_16_8_wgs_256_tpt_256_halfLds_half_op_CI_CI_unitstride_sbrr_R2C_dirReg
	.p2align	8
	.type	fft_rtc_fwd_len2048_factors_16_16_8_wgs_256_tpt_256_halfLds_half_op_CI_CI_unitstride_sbrr_R2C_dirReg,@function
fft_rtc_fwd_len2048_factors_16_16_8_wgs_256_tpt_256_halfLds_half_op_CI_CI_unitstride_sbrr_R2C_dirReg: ; @fft_rtc_fwd_len2048_factors_16_16_8_wgs_256_tpt_256_halfLds_half_op_CI_CI_unitstride_sbrr_R2C_dirReg
; %bb.0:
	s_load_dwordx4 s[4:7], s[0:1], 0x58
	s_load_dwordx4 s[8:11], s[0:1], 0x0
	;; [unrolled: 1-line block ×3, first 2 shown]
	v_mov_b32_e32 v10, s2
	v_mov_b32_e32 v2, 0
	v_mov_b32_e32 v11, v2
	s_waitcnt lgkmcnt(0)
	v_cmp_lt_u64_e64 s[2:3], s[10:11], 2
	s_and_b64 vcc, exec, s[2:3]
	v_mov_b64_e32 v[4:5], 0
	s_cbranch_vccnz .LBB0_8
; %bb.1:
	s_load_dwordx2 s[2:3], s[0:1], 0x10
	s_add_u32 s16, s14, 8
	s_addc_u32 s17, s15, 0
	s_add_u32 s18, s12, 8
	s_addc_u32 s19, s13, 0
	s_waitcnt lgkmcnt(0)
	s_add_u32 s20, s2, 8
	v_mov_b64_e32 v[4:5], 0
	s_addc_u32 s21, s3, 0
	s_mov_b64 s[22:23], 1
	v_mov_b64_e32 v[6:7], v[4:5]
.LBB0_2:                                ; =>This Inner Loop Header: Depth=1
	s_load_dwordx2 s[24:25], s[20:21], 0x0
                                        ; implicit-def: $vgpr8_vgpr9
	s_waitcnt lgkmcnt(0)
	v_or_b32_e32 v3, s25, v11
	v_cmp_ne_u64_e32 vcc, 0, v[2:3]
	s_and_saveexec_b64 s[2:3], vcc
	s_xor_b64 s[26:27], exec, s[2:3]
	s_cbranch_execz .LBB0_4
; %bb.3:                                ;   in Loop: Header=BB0_2 Depth=1
	v_cvt_f32_u32_e32 v1, s24
	v_cvt_f32_u32_e32 v3, s25
	s_sub_u32 s2, 0, s24
	s_subb_u32 s3, 0, s25
	v_fmac_f32_e32 v1, 0x4f800000, v3
	v_rcp_f32_e32 v1, v1
	s_nop 0
	v_mul_f32_e32 v1, 0x5f7ffffc, v1
	v_mul_f32_e32 v3, 0x2f800000, v1
	v_trunc_f32_e32 v3, v3
	v_fmac_f32_e32 v1, 0xcf800000, v3
	v_cvt_u32_f32_e32 v3, v3
	v_cvt_u32_f32_e32 v1, v1
	v_mul_lo_u32 v8, s2, v3
	v_mul_hi_u32 v12, s2, v1
	v_mul_lo_u32 v9, s3, v1
	v_add_u32_e32 v12, v12, v8
	v_mul_lo_u32 v14, s2, v1
	v_add_u32_e32 v15, v12, v9
	v_mul_hi_u32 v8, v1, v14
	v_mul_hi_u32 v13, v1, v15
	v_mul_lo_u32 v12, v1, v15
	v_mov_b32_e32 v9, v2
	v_lshl_add_u64 v[8:9], v[8:9], 0, v[12:13]
	v_mul_hi_u32 v13, v3, v14
	v_mul_lo_u32 v14, v3, v14
	v_add_co_u32_e32 v8, vcc, v8, v14
	v_mul_hi_u32 v12, v3, v15
	s_nop 0
	v_addc_co_u32_e32 v8, vcc, v9, v13, vcc
	v_mov_b32_e32 v9, v2
	s_nop 0
	v_addc_co_u32_e32 v13, vcc, 0, v12, vcc
	v_mul_lo_u32 v12, v3, v15
	v_lshl_add_u64 v[8:9], v[8:9], 0, v[12:13]
	v_add_co_u32_e32 v1, vcc, v1, v8
	v_mul_lo_u32 v12, s2, v1
	s_nop 0
	v_addc_co_u32_e32 v3, vcc, v3, v9, vcc
	v_mul_lo_u32 v8, s2, v3
	v_mul_hi_u32 v9, s2, v1
	v_add_u32_e32 v8, v9, v8
	v_mul_lo_u32 v9, s3, v1
	v_add_u32_e32 v14, v8, v9
	v_mul_hi_u32 v16, v3, v12
	v_mul_lo_u32 v17, v3, v12
	v_mul_hi_u32 v9, v1, v14
	v_mul_lo_u32 v8, v1, v14
	v_mul_hi_u32 v12, v1, v12
	v_mov_b32_e32 v13, v2
	v_lshl_add_u64 v[8:9], v[12:13], 0, v[8:9]
	v_add_co_u32_e32 v8, vcc, v8, v17
	v_mul_hi_u32 v15, v3, v14
	s_nop 0
	v_addc_co_u32_e32 v8, vcc, v9, v16, vcc
	v_mul_lo_u32 v12, v3, v14
	s_nop 0
	v_addc_co_u32_e32 v13, vcc, 0, v15, vcc
	v_mov_b32_e32 v9, v2
	v_lshl_add_u64 v[8:9], v[8:9], 0, v[12:13]
	v_add_co_u32_e32 v1, vcc, v1, v8
	v_mul_hi_u32 v12, v10, v1
	s_nop 0
	v_addc_co_u32_e32 v3, vcc, v3, v9, vcc
	v_mad_u64_u32 v[8:9], s[2:3], v10, v3, 0
	v_mov_b32_e32 v13, v2
	v_lshl_add_u64 v[8:9], v[12:13], 0, v[8:9]
	v_mad_u64_u32 v[14:15], s[2:3], v11, v1, 0
	v_add_co_u32_e32 v1, vcc, v8, v14
	v_mad_u64_u32 v[12:13], s[2:3], v11, v3, 0
	s_nop 0
	v_addc_co_u32_e32 v8, vcc, v9, v15, vcc
	v_mov_b32_e32 v9, v2
	s_nop 0
	v_addc_co_u32_e32 v13, vcc, 0, v13, vcc
	v_lshl_add_u64 v[8:9], v[8:9], 0, v[12:13]
	v_mul_lo_u32 v1, s25, v8
	v_mul_lo_u32 v3, s24, v9
	v_mad_u64_u32 v[12:13], s[2:3], s24, v8, 0
	v_add3_u32 v1, v13, v3, v1
	v_sub_u32_e32 v3, v11, v1
	v_mov_b32_e32 v13, s25
	v_sub_co_u32_e32 v16, vcc, v10, v12
	v_lshl_add_u64 v[14:15], v[8:9], 0, 1
	s_nop 0
	v_subb_co_u32_e64 v3, s[2:3], v3, v13, vcc
	v_subrev_co_u32_e64 v12, s[2:3], s24, v16
	v_subb_co_u32_e32 v1, vcc, v11, v1, vcc
	s_nop 0
	v_subbrev_co_u32_e64 v3, s[2:3], 0, v3, s[2:3]
	v_cmp_le_u32_e64 s[2:3], s25, v3
	v_cmp_le_u32_e32 vcc, s25, v1
	s_nop 0
	v_cndmask_b32_e64 v13, 0, -1, s[2:3]
	v_cmp_le_u32_e64 s[2:3], s24, v12
	s_nop 1
	v_cndmask_b32_e64 v12, 0, -1, s[2:3]
	v_cmp_eq_u32_e64 s[2:3], s25, v3
	s_nop 1
	v_cndmask_b32_e64 v3, v13, v12, s[2:3]
	v_lshl_add_u64 v[12:13], v[8:9], 0, 2
	v_cmp_ne_u32_e64 s[2:3], 0, v3
	s_nop 1
	v_cndmask_b32_e64 v3, v15, v13, s[2:3]
	v_cndmask_b32_e64 v13, 0, -1, vcc
	v_cmp_le_u32_e32 vcc, s24, v16
	s_nop 1
	v_cndmask_b32_e64 v15, 0, -1, vcc
	v_cmp_eq_u32_e32 vcc, s25, v1
	s_nop 1
	v_cndmask_b32_e32 v1, v13, v15, vcc
	v_cmp_ne_u32_e32 vcc, 0, v1
	v_cndmask_b32_e64 v1, v14, v12, s[2:3]
	s_nop 0
	v_cndmask_b32_e32 v9, v9, v3, vcc
	v_cndmask_b32_e32 v8, v8, v1, vcc
.LBB0_4:                                ;   in Loop: Header=BB0_2 Depth=1
	s_andn2_saveexec_b64 s[2:3], s[26:27]
	s_cbranch_execz .LBB0_6
; %bb.5:                                ;   in Loop: Header=BB0_2 Depth=1
	v_cvt_f32_u32_e32 v1, s24
	s_sub_i32 s26, 0, s24
	v_rcp_iflag_f32_e32 v1, v1
	s_nop 0
	v_mul_f32_e32 v1, 0x4f7ffffe, v1
	v_cvt_u32_f32_e32 v1, v1
	v_mul_lo_u32 v3, s26, v1
	v_mul_hi_u32 v3, v1, v3
	v_add_u32_e32 v1, v1, v3
	v_mul_hi_u32 v1, v10, v1
	v_mul_lo_u32 v3, v1, s24
	v_sub_u32_e32 v3, v10, v3
	v_add_u32_e32 v8, 1, v1
	v_subrev_u32_e32 v9, s24, v3
	v_cmp_le_u32_e32 vcc, s24, v3
	s_nop 1
	v_cndmask_b32_e32 v3, v3, v9, vcc
	v_cndmask_b32_e32 v1, v1, v8, vcc
	v_add_u32_e32 v8, 1, v1
	v_cmp_le_u32_e32 vcc, s24, v3
	v_mov_b32_e32 v9, v2
	s_nop 0
	v_cndmask_b32_e32 v8, v1, v8, vcc
.LBB0_6:                                ;   in Loop: Header=BB0_2 Depth=1
	s_or_b64 exec, exec, s[2:3]
	v_mad_u64_u32 v[12:13], s[2:3], v8, s24, 0
	s_load_dwordx2 s[2:3], s[18:19], 0x0
	v_mul_lo_u32 v1, v9, s24
	v_mul_lo_u32 v3, v8, s25
	s_load_dwordx2 s[24:25], s[16:17], 0x0
	s_add_u32 s22, s22, 1
	v_add3_u32 v1, v13, v3, v1
	v_sub_co_u32_e32 v3, vcc, v10, v12
	s_addc_u32 s23, s23, 0
	s_nop 0
	v_subb_co_u32_e32 v1, vcc, v11, v1, vcc
	s_add_u32 s16, s16, 8
	s_waitcnt lgkmcnt(0)
	v_mul_lo_u32 v10, s2, v1
	v_mul_lo_u32 v11, s3, v3
	v_mad_u64_u32 v[4:5], s[2:3], s2, v3, v[4:5]
	s_addc_u32 s17, s17, 0
	v_add3_u32 v5, v11, v5, v10
	v_mul_lo_u32 v1, s24, v1
	v_mul_lo_u32 v10, s25, v3
	v_mad_u64_u32 v[6:7], s[2:3], s24, v3, v[6:7]
	s_add_u32 s18, s18, 8
	v_add3_u32 v7, v10, v7, v1
	s_addc_u32 s19, s19, 0
	v_mov_b64_e32 v[10:11], s[10:11]
	s_add_u32 s20, s20, 8
	v_cmp_ge_u64_e32 vcc, s[22:23], v[10:11]
	s_addc_u32 s21, s21, 0
	s_cbranch_vccnz .LBB0_9
; %bb.7:                                ;   in Loop: Header=BB0_2 Depth=1
	v_mov_b64_e32 v[10:11], v[8:9]
	s_branch .LBB0_2
.LBB0_8:
	v_mov_b64_e32 v[6:7], v[4:5]
	v_mov_b64_e32 v[8:9], v[10:11]
.LBB0_9:
	s_load_dwordx2 s[0:1], s[0:1], 0x28
	s_lshl_b64 s[10:11], s[10:11], 3
	s_add_u32 s2, s14, s10
	s_addc_u32 s3, s15, s11
	s_waitcnt lgkmcnt(0)
	v_cmp_gt_u64_e32 vcc, s[0:1], v[8:9]
	v_cmp_le_u64_e64 s[0:1], s[0:1], v[8:9]
	s_and_saveexec_b64 s[14:15], s[0:1]
	s_xor_b64 s[0:1], exec, s[14:15]
; %bb.10:
                                        ; implicit-def: $vgpr4_vgpr5
; %bb.11:
	s_or_saveexec_b64 s[0:1], s[0:1]
	v_lshlrev_b32_e32 v2, 2, v0
	s_xor_b64 exec, exec, s[0:1]
	s_cbranch_execz .LBB0_13
; %bb.12:
	s_add_u32 s10, s12, s10
	s_addc_u32 s11, s13, s11
	s_load_dwordx2 s[10:11], s[10:11], 0x0
	v_mov_b32_e32 v3, 0
	v_mov_b32_e32 v13, v3
	v_or_b32_e32 v16, 0x1000, v2
	v_mov_b32_e32 v17, v3
	s_waitcnt lgkmcnt(0)
	v_mul_lo_u32 v1, s11, v8
	v_mul_lo_u32 v12, s10, v9
	v_mad_u64_u32 v[10:11], s[10:11], s10, v8, 0
	v_add3_u32 v11, v11, v12, v1
	v_lshl_add_u64 v[10:11], v[10:11], 2, s[4:5]
	v_lshl_add_u64 v[4:5], v[4:5], 2, v[10:11]
	;; [unrolled: 1-line block ×3, first 2 shown]
	v_or_b32_e32 v12, 0xc00, v2
	v_or_b32_e32 v18, 0x1400, v2
	v_mov_b32_e32 v19, v3
	v_or_b32_e32 v20, 0x1800, v2
	v_mov_b32_e32 v21, v3
	;; [unrolled: 2-line block ×3, first 2 shown]
	v_lshl_add_u64 v[14:15], v[4:5], 0, v[12:13]
	v_lshl_add_u64 v[16:17], v[4:5], 0, v[16:17]
	;; [unrolled: 1-line block ×5, first 2 shown]
	global_load_dword v1, v[10:11], off
	global_load_dword v3, v[10:11], off offset:1024
	global_load_dword v13, v[10:11], off offset:2048
	global_load_dword v23, v[14:15], off
	global_load_dword v24, v[16:17], off
	;; [unrolled: 1-line block ×5, first 2 shown]
	v_add_u32_e32 v4, 0, v2
	v_add_u32_e32 v5, 0, v12
	;; [unrolled: 1-line block ×3, first 2 shown]
	s_waitcnt vmcnt(6)
	ds_write2st64_b32 v4, v1, v3 offset1:4
	s_waitcnt vmcnt(4)
	ds_write_b32 v5, v23
	s_waitcnt vmcnt(3)
	ds_write2st64_b32 v4, v13, v24 offset0:8 offset1:16
	s_waitcnt vmcnt(1)
	ds_write2st64_b32 v4, v25, v26 offset0:20 offset1:24
	s_waitcnt vmcnt(0)
	ds_write_b32 v10, v27
.LBB0_13:
	s_or_b64 exec, exec, s[0:1]
	v_lshl_add_u32 v24, v0, 2, 0
	s_waitcnt lgkmcnt(0)
	s_barrier
	ds_read2st64_b32 v[4:5], v24 offset1:2
	ds_read2st64_b32 v[10:11], v24 offset0:4 offset1:6
	ds_read2st64_b32 v[12:13], v24 offset0:8 offset1:10
	;; [unrolled: 1-line block ×7, first 2 shown]
	s_waitcnt lgkmcnt(4)
	v_pk_add_f16 v1, v4, v14 neg_lo:[0,1] neg_hi:[0,1]
	s_mov_b32 s0, 0xb9a8
	v_pk_fma_f16 v3, v4, 2.0, v1 op_sel_hi:[1,0,1] neg_lo:[0,0,1] neg_hi:[0,0,1]
	s_waitcnt lgkmcnt(2)
	v_pk_add_f16 v4, v12, v18 neg_lo:[0,1] neg_hi:[0,1]
	s_waitcnt lgkmcnt(1)
	v_pk_add_f16 v14, v10, v20 neg_lo:[0,1] neg_hi:[0,1]
	;; [unrolled: 2-line block ×3, first 2 shown]
	v_pk_fma_f16 v12, v12, 2.0, v4 op_sel_hi:[1,0,1] neg_lo:[0,0,1] neg_hi:[0,0,1]
	v_pk_fma_f16 v10, v10, 2.0, v14 op_sel_hi:[1,0,1] neg_lo:[0,0,1] neg_hi:[0,0,1]
	;; [unrolled: 1-line block ×3, first 2 shown]
	v_pk_add_f16 v20, v11, v21 neg_lo:[0,1] neg_hi:[0,1]
	v_pk_add_f16 v21, v17, v23 neg_lo:[0,1] neg_hi:[0,1]
	;; [unrolled: 1-line block ×3, first 2 shown]
	v_sub_f16_sdwa v22, v1, v4 dst_sel:DWORD dst_unused:UNUSED_PAD src0_sel:DWORD src1_sel:WORD_1
	v_lshrrev_b32_e32 v23, 16, v1
	v_pk_add_f16 v16, v10, v16 neg_lo:[0,1] neg_hi:[0,1]
	v_sub_f16_sdwa v25, v14, v18 dst_sel:DWORD dst_unused:UNUSED_PAD src0_sel:DWORD src1_sel:WORD_1
	v_lshrrev_b32_e32 v26, 16, v14
	v_pk_fma_f16 v3, v3, 2.0, v12 op_sel_hi:[1,0,1] neg_lo:[0,0,1] neg_hi:[0,0,1]
	v_add_f16_e32 v4, v23, v4
	v_fma_f16 v1, v1, 2.0, -v22
	v_pk_fma_f16 v10, v10, 2.0, v16 op_sel_hi:[1,0,1] neg_lo:[0,0,1] neg_hi:[0,0,1]
	v_add_f16_e32 v18, v26, v18
	v_fma_f16 v14, v14, 2.0, -v25
	v_fma_f16 v23, v23, 2.0, -v4
	v_fma_f16 v26, v26, 2.0, -v18
	v_pk_add_f16 v31, v3, v10 neg_lo:[0,1] neg_hi:[0,1]
	v_fma_f16 v10, v14, s0, v1
	v_pk_add_f16 v15, v5, v15 neg_lo:[0,1] neg_hi:[0,1]
	v_pk_add_f16 v19, v13, v19 neg_lo:[0,1] neg_hi:[0,1]
	v_fma_f16 v32, v26, s0, v23
	v_fma_f16 v34, v26, s0, v10
	s_movk_i32 s1, 0x39a8
	v_lshrrev_b32_e32 v10, 16, v12
	v_pk_fma_f16 v5, v5, 2.0, v15 op_sel_hi:[1,0,1] neg_lo:[0,0,1] neg_hi:[0,0,1]
	v_pk_fma_f16 v13, v13, 2.0, v19 op_sel_hi:[1,0,1] neg_lo:[0,0,1] neg_hi:[0,0,1]
	;; [unrolled: 1-line block ×4, first 2 shown]
	v_sub_f16_sdwa v27, v15, v19 dst_sel:DWORD dst_unused:UNUSED_PAD src0_sel:DWORD src1_sel:WORD_1
	v_lshrrev_b32_e32 v28, 16, v15
	v_sub_f16_sdwa v29, v20, v21 dst_sel:DWORD dst_unused:UNUSED_PAD src0_sel:DWORD src1_sel:WORD_1
	v_lshrrev_b32_e32 v30, 16, v20
	v_fma_f16 v35, v14, s1, v32
	v_add_f16_e32 v37, v10, v16
	v_pk_add_f16 v13, v5, v13 neg_lo:[0,1] neg_hi:[0,1]
	v_add_f16_e32 v19, v28, v19
	v_fma_f16 v15, v15, 2.0, -v27
	v_pk_add_f16 v17, v11, v17 neg_lo:[0,1] neg_hi:[0,1]
	v_add_f16_e32 v21, v30, v21
	v_fma_f16 v20, v20, 2.0, -v29
	v_fma_f16 v14, v23, 2.0, -v35
	;; [unrolled: 1-line block ×3, first 2 shown]
	v_fma_f16 v10, v25, s1, v22
	v_pk_fma_f16 v5, v5, 2.0, v13 op_sel_hi:[1,0,1] neg_lo:[0,0,1] neg_hi:[0,0,1]
	v_fma_f16 v28, v28, 2.0, -v19
	v_pk_fma_f16 v11, v11, 2.0, v17 op_sel_hi:[1,0,1] neg_lo:[0,0,1] neg_hi:[0,0,1]
	v_fma_f16 v30, v30, 2.0, -v21
	v_sub_f16_sdwa v36, v12, v16 dst_sel:DWORD dst_unused:UNUSED_PAD src0_sel:DWORD src1_sel:WORD_1
	v_fma_f16 v39, v18, s0, v10
	v_fma_f16 v10, v20, s0, v15
	v_fma_f16 v16, v12, 2.0, -v36
	v_fma_f16 v12, v18, s1, v4
	v_pk_add_f16 v33, v5, v11 neg_lo:[0,1] neg_hi:[0,1]
	v_fma_f16 v11, v30, s0, v28
	v_fma_f16 v30, v30, s0, v10
	v_lshrrev_b32_e32 v10, 16, v13
	v_pk_fma_f16 v3, v3, 2.0, v31 op_sel_hi:[1,0,1] neg_lo:[0,0,1] neg_hi:[0,0,1]
	v_fma_f16 v40, v25, s1, v12
	v_pk_fma_f16 v5, v5, 2.0, v33 op_sel_hi:[1,0,1] neg_lo:[0,0,1] neg_hi:[0,0,1]
	v_add_f16_e32 v42, v10, v17
	v_fma_f16 v12, v21, s1, v19
	v_fma_f16 v1, v1, 2.0, -v34
	v_fma_f16 v38, v20, s1, v11
	v_fma_f16 v11, v15, 2.0, -v30
	v_fma_f16 v18, v10, 2.0, -v42
	v_fma_f16 v10, v29, s1, v27
	v_fma_f16 v44, v29, s1, v12
	v_pk_add_f16 v12, v3, v5 neg_lo:[0,1] neg_hi:[0,1]
	s_mov_b32 s4, 0xbb64
	v_fma_f16 v15, v28, 2.0, -v38
	v_sub_f16_sdwa v41, v13, v17 dst_sel:DWORD dst_unused:UNUSED_PAD src0_sel:DWORD src1_sel:WORD_1
	v_fma_f16 v43, v21, s0, v10
	v_pk_fma_f16 v10, v3, 2.0, v12 op_sel_hi:[1,0,1] neg_lo:[0,0,1] neg_hi:[0,0,1]
	v_fma_f16 v3, v11, s4, v1
	s_mov_b32 s5, 0xb61f
	v_fma_f16 v17, v13, 2.0, -v41
	v_fma_f16 v5, v15, s4, v14
	v_fma_f16 v13, v15, s5, v3
	s_movk_i32 s10, 0x361f
	v_fma_f16 v22, v22, 2.0, -v39
	v_fma_f16 v28, v27, 2.0, -v43
	v_fma_f16 v25, v11, s10, v5
	v_fma_f16 v11, v1, 2.0, -v13
	v_fma_f16 v1, v17, s0, v16
	v_fma_f16 v4, v4, 2.0, -v40
	v_fma_f16 v19, v19, 2.0, -v44
	v_fma_f16 v3, v18, s0, v23
	v_fma_f16 v20, v18, s0, v1
	;; [unrolled: 1-line block ×6, first 2 shown]
	s_movk_i32 s11, 0x3b64
	v_fma_f16 v5, v38, s10, v35
	v_fma_f16 v18, v16, 2.0, -v20
	v_fma_f16 v28, v28, s11, v3
	v_fma_f16 v19, v22, 2.0, -v21
	v_pk_add_f16 v3, v31, v33 op_sel:[0,1] op_sel_hi:[1,0]
	v_pk_add_f16 v16, v31, v33 op_sel:[0,1] op_sel_hi:[1,0] neg_lo:[0,1] neg_hi:[0,1]
	v_fma_f16 v1, v30, s10, v34
	v_fma_f16 v33, v30, s11, v5
	;; [unrolled: 1-line block ×4, first 2 shown]
	v_fma_f16 v29, v23, 2.0, -v26
	s_mov_b32 s12, 0xffff
	v_fma_f16 v17, v38, s4, v1
	v_fma_f16 v23, v42, s0, v5
	;; [unrolled: 1-line block ×5, first 2 shown]
	v_fma_f16 v32, v4, 2.0, -v28
	v_bfi_b32 v4, s12, v16, v3
	v_fma_f16 v1, v35, 2.0, -v33
	v_fma_f16 v22, v36, 2.0, -v23
	;; [unrolled: 1-line block ×3, first 2 shown]
	v_fma_f16 v36, v44, s5, v5
	v_fma_f16 v37, v43, s10, v30
	s_movk_i32 s0, 0x80
	v_fma_f16 v27, v14, 2.0, -v25
	v_pk_fma_f16 v14, v31, 2.0, v4 op_sel_hi:[1,0,1] neg_lo:[0,0,1] neg_hi:[0,0,1]
	v_fma_f16 v15, v34, 2.0, -v17
	v_fma_f16 v31, v39, 2.0, -v36
	;; [unrolled: 1-line block ×3, first 2 shown]
	v_cmp_gt_u32_e64 s[0:1], s0, v0
	s_barrier
	s_and_saveexec_b64 s[4:5], s[0:1]
	s_cbranch_execz .LBB0_15
; %bb.14:
	s_mov_b32 s10, 0x5040100
	v_mad_u32_u24 v5, v0, 60, v24
	v_perm_b32 v30, v27, v11, s10
	ds_write2_b32 v5, v10, v30 offset1:1
	v_perm_b32 v30, v32, v19, s10
	v_perm_b32 v39, v29, v18, s10
	ds_write2_b32 v5, v39, v30 offset0:2 offset1:3
	v_perm_b32 v30, v1, v15, s10
	ds_write2_b32 v5, v14, v30 offset0:4 offset1:5
	v_perm_b32 v30, v34, v31, s10
	v_perm_b32 v39, v35, v22, s10
	ds_write2_b32 v5, v39, v30 offset0:6 offset1:7
	v_perm_b32 v30, v25, v13, s10
	ds_write2_b32 v5, v12, v30 offset0:8 offset1:9
	;; [unrolled: 5-line block ×3, first 2 shown]
	v_perm_b32 v4, v37, v36, s10
	v_perm_b32 v30, v38, v23, s10
	ds_write2_b32 v5, v30, v4 offset0:14 offset1:15
.LBB0_15:
	s_or_b64 exec, exec, s[4:5]
	v_lshrrev_b32_e32 v30, 16, v3
	s_waitcnt lgkmcnt(0)
	s_barrier
	s_and_saveexec_b64 s[4:5], s[0:1]
	s_cbranch_execz .LBB0_17
; %bb.16:
	v_add_u32_e32 v1, 0, v2
	ds_read2st64_b32 v[10:11], v24 offset1:2
	ds_read2st64_b32 v[18:19], v24 offset0:4 offset1:6
	ds_read2st64_b32 v[14:15], v24 offset0:8 offset1:10
	;; [unrolled: 1-line block ×5, first 2 shown]
	v_or_b32_e32 v1, 0xe00, v2
	v_add_u32_e32 v1, 0, v1
	v_or_b32_e32 v2, 0x1e00, v2
	ds_read2st64_b32 v[16:17], v24 offset0:24 offset1:26
	v_add_u32_e32 v2, 0, v2
	ds_read_b32 v31, v1
	ds_read_b32 v36, v2
	s_waitcnt lgkmcnt(5)
	v_lshrrev_b32_e32 v25, 16, v13
	s_waitcnt lgkmcnt(4)
	v_lshrrev_b32_e32 v26, 16, v20
	v_lshrrev_b32_e32 v28, 16, v21
	s_waitcnt lgkmcnt(2)
	v_lshrrev_b32_e32 v30, 16, v16
	v_lshrrev_b32_e32 v33, 16, v17
	;; [unrolled: 1-line block ×3, first 2 shown]
	s_waitcnt lgkmcnt(0)
	v_lshrrev_b32_e32 v37, 16, v36
	v_lshrrev_b32_e32 v27, 16, v11
	;; [unrolled: 1-line block ×7, first 2 shown]
.LBB0_17:
	s_or_b64 exec, exec, s[4:5]
	s_barrier
	s_and_saveexec_b64 s[4:5], s[0:1]
	s_cbranch_execz .LBB0_19
; %bb.18:
	v_and_b32_e32 v39, 15, v0
	v_mul_u32_u24_e32 v2, 15, v39
	v_lshlrev_b32_e32 v51, 2, v2
	global_load_dwordx4 v[40:43], v51, s[8:9]
	global_load_dwordx4 v[44:47], v51, s[8:9] offset:32
	global_load_dwordx3 v[48:50], v51, s[8:9] offset:48
	global_load_dwordx4 v[2:5], v51, s[8:9] offset:16
	v_lshrrev_b32_e32 v51, 16, v12
	v_lshrrev_b32_e32 v52, 16, v14
	s_movk_i32 s0, 0x39a8
	s_mov_b32 s1, 0xb9a8
	s_mov_b32 s10, 0xb61f
	;; [unrolled: 1-line block ×3, first 2 shown]
	s_movk_i32 s12, 0x3b64
	s_movk_i32 s13, 0x361f
	s_waitcnt vmcnt(3)
	v_mul_f16_sdwa v53, v29, v41 dst_sel:DWORD dst_unused:UNUSED_PAD src0_sel:DWORD src1_sel:WORD_1
	s_waitcnt vmcnt(2)
	v_mul_f16_sdwa v54, v26, v45 dst_sel:DWORD dst_unused:UNUSED_PAD src0_sel:DWORD src1_sel:WORD_1
	;; [unrolled: 2-line block ×3, first 2 shown]
	v_mul_f16_sdwa v56, v38, v49 dst_sel:DWORD dst_unused:UNUSED_PAD src0_sel:DWORD src1_sel:WORD_1
	v_fma_f16 v38, v38, v49, v55
	v_mul_f16_sdwa v55, v36, v50 dst_sel:DWORD dst_unused:UNUSED_PAD src0_sel:DWORD src1_sel:WORD_1
	v_fma_f16 v55, v37, v50, v55
	v_mul_f16_sdwa v37, v37, v50 dst_sel:DWORD dst_unused:UNUSED_PAD src0_sel:DWORD src1_sel:WORD_1
	v_fma_f16 v36, v36, v50, -v37
	v_mul_f16_sdwa v37, v17, v48 dst_sel:DWORD dst_unused:UNUSED_PAD src0_sel:DWORD src1_sel:WORD_1
	v_fma_f16 v37, v33, v48, v37
	v_mul_f16_sdwa v33, v33, v48 dst_sel:DWORD dst_unused:UNUSED_PAD src0_sel:DWORD src1_sel:WORD_1
	v_fma_f16 v17, v17, v48, -v33
	v_mul_f16_sdwa v48, v18, v41 dst_sel:DWORD dst_unused:UNUSED_PAD src0_sel:DWORD src1_sel:WORD_1
	v_fma_f16 v18, v18, v41, -v53
	;; [unrolled: 2-line block ×3, first 2 shown]
	v_mul_f16_sdwa v21, v21, v46 dst_sel:DWORD dst_unused:UNUSED_PAD src0_sel:DWORD src1_sel:WORD_1
	v_fma_f16 v21, v28, v46, v21
	s_waitcnt vmcnt(0)
	v_mul_f16_sdwa v28, v31, v4 dst_sel:DWORD dst_unused:UNUSED_PAD src0_sel:DWORD src1_sel:WORD_1
	v_fma_f16 v28, v34, v4, v28
	v_mul_f16_sdwa v34, v34, v4 dst_sel:DWORD dst_unused:UNUSED_PAD src0_sel:DWORD src1_sel:WORD_1
	v_mul_f16_sdwa v50, v32, v42 dst_sel:DWORD dst_unused:UNUSED_PAD src0_sel:DWORD src1_sel:WORD_1
	v_fma_f16 v4, v31, v4, -v34
	v_mul_f16_sdwa v31, v11, v40 dst_sel:DWORD dst_unused:UNUSED_PAD src0_sel:DWORD src1_sel:WORD_1
	v_fma_f16 v23, v23, v49, -v56
	v_mul_f16_sdwa v33, v22, v3 dst_sel:DWORD dst_unused:UNUSED_PAD src0_sel:DWORD src1_sel:WORD_1
	v_mul_f16_sdwa v49, v35, v3 dst_sel:DWORD dst_unused:UNUSED_PAD src0_sel:DWORD src1_sel:WORD_1
	v_fma_f16 v50, v19, v42, -v50
	v_mul_f16_sdwa v19, v19, v42 dst_sel:DWORD dst_unused:UNUSED_PAD src0_sel:DWORD src1_sel:WORD_1
	v_fma_f16 v29, v29, v41, v48
	v_mul_f16_sdwa v41, v27, v40 dst_sel:DWORD dst_unused:UNUSED_PAD src0_sel:DWORD src1_sel:WORD_1
	v_fma_f16 v27, v27, v40, v31
	v_mul_f16_sdwa v31, v13, v44 dst_sel:DWORD dst_unused:UNUSED_PAD src0_sel:DWORD src1_sel:WORD_1
	v_fma_f16 v22, v22, v3, -v49
	v_mul_f16_sdwa v49, v20, v45 dst_sel:DWORD dst_unused:UNUSED_PAD src0_sel:DWORD src1_sel:WORD_1
	v_fma_f16 v20, v20, v45, -v54
	v_mul_f16_sdwa v54, v51, v5 dst_sel:DWORD dst_unused:UNUSED_PAD src0_sel:DWORD src1_sel:WORD_1
	v_fma_f16 v3, v35, v3, v33
	v_mul_f16_sdwa v35, v16, v47 dst_sel:DWORD dst_unused:UNUSED_PAD src0_sel:DWORD src1_sel:WORD_1
	v_fma_f16 v19, v32, v42, v19
	;; [unrolled: 2-line block ×3, first 2 shown]
	v_mul_f16_sdwa v31, v15, v2 dst_sel:DWORD dst_unused:UNUSED_PAD src0_sel:DWORD src1_sel:WORD_1
	v_mul_f16_sdwa v33, v14, v43 dst_sel:DWORD dst_unused:UNUSED_PAD src0_sel:DWORD src1_sel:WORD_1
	;; [unrolled: 1-line block ×3, first 2 shown]
	v_fma_f16 v35, v30, v47, v35
	v_mul_f16_sdwa v30, v30, v47 dst_sel:DWORD dst_unused:UNUSED_PAD src0_sel:DWORD src1_sel:WORD_1
	v_fma_f16 v42, v12, v5, -v54
	v_fma_f16 v31, v1, v2, v31
	v_mul_f16_sdwa v1, v1, v2 dst_sel:DWORD dst_unused:UNUSED_PAD src0_sel:DWORD src1_sel:WORD_1
	v_mul_f16_sdwa v12, v12, v5 dst_sel:DWORD dst_unused:UNUSED_PAD src0_sel:DWORD src1_sel:WORD_1
	v_fma_f16 v26, v26, v45, v49
	v_fma_f16 v33, v52, v43, v33
	v_fma_f16 v11, v11, v40, -v41
	v_fma_f16 v13, v13, v44, -v32
	;; [unrolled: 1-line block ×5, first 2 shown]
	v_fma_f16 v5, v51, v5, v12
	v_lshrrev_b32_e32 v51, 16, v10
	v_sub_f16_e32 v30, v10, v42
	v_sub_f16_e32 v32, v33, v35
	;; [unrolled: 1-line block ×18, first 2 shown]
	v_add_f16_e32 v42, v26, v23
	v_sub_f16_e32 v43, v13, v35
	v_sub_f16_e32 v44, v37, v38
	v_add_f16_e32 v45, v21, v36
	v_add_f16_e32 v25, v15, v17
	v_add_f16_e32 v53, v5, v16
	v_fma_f16 v46, v41, s0, v40
	v_fma_f16 v47, v44, s0, v43
	v_fma_f16 v52, v45, s0, v25
	v_fma_f16 v54, v42, s0, v53
	v_fma_f16 v46, v42, s1, v46
	v_fma_f16 v47, v45, s1, v47
	v_fma_f16 v52, v44, s0, v52
	v_fma_f16 v54, v41, s0, v54
	v_fma_f16 v48, v40, 2.0, -v46
	v_fma_f16 v49, v43, 2.0, -v47
	;; [unrolled: 1-line block ×17, first 2 shown]
	v_fma_f16 v2, v49, s10, v48
	v_fma_f16 v43, v13, 2.0, -v43
	v_fma_f16 v10, v10, 2.0, -v30
	;; [unrolled: 1-line block ×7, first 2 shown]
	v_sub_f16_e32 v27, v15, v27
	v_sub_f16_e32 v4, v28, v4
	;; [unrolled: 1-line block ×4, first 2 shown]
	v_fma_f16 v2, v12, s11, v2
	v_fma_f16 v12, v12, s10, v55
	v_fma_f16 v44, v37, 2.0, -v44
	v_sub_f16_e32 v14, v10, v14
	v_sub_f16_e32 v3, v16, v3
	v_sub_f16_e32 v1, v11, v1
	v_sub_f16_e32 v17, v13, v17
	v_add_f16_e32 v29, v27, v4
	v_add_f16_e32 v22, v31, v20
	v_fma_f16 v12, v49, s12, v12
	v_fma_f16 v49, v44, s1, v43
	v_fma_f16 v45, v21, 2.0, -v45
	v_fma_f16 v42, v26, 2.0, -v42
	v_sub_f16_e32 v26, v14, v3
	v_sub_f16_e32 v19, v1, v17
	v_fma_f16 v23, v29, s0, v22
	v_fma_f16 v40, v30, 2.0, -v40
	v_fma_f16 v49, v45, s1, v49
	v_fma_f16 v45, v45, s1, v25
	v_fma_f16 v21, v19, s0, v26
	v_fma_f16 v23, v19, s0, v23
	v_fma_f16 v34, v14, 2.0, -v26
	v_fma_f16 v19, v1, 2.0, -v19
	v_fma_f16 v44, v44, s0, v45
	v_fma_f16 v45, v41, s1, v40
	v_fma_f16 v21, v29, s1, v21
	v_fma_f16 v35, v19, s1, v34
	v_fma_f16 v29, v27, 2.0, -v29
	;; [unrolled: 6-line block ×3, first 2 shown]
	v_fma_f16 v3, v16, 2.0, -v3
	v_fma_f16 v1, v11, 2.0, -v1
	;; [unrolled: 1-line block ×3, first 2 shown]
	v_fma_f16 v41, v41, s0, v42
	v_fma_f16 v19, v19, s0, v29
	v_fma_f16 v10, v10, 2.0, -v14
	v_fma_f16 v14, v18, 2.0, -v20
	v_fma_f16 v15, v15, 2.0, -v27
	v_fma_f16 v13, v13, 2.0, -v17
	v_sub_f16_e32 v3, v5, v3
	v_sub_f16_e32 v4, v1, v4
	v_fma_f16 v28, v40, 2.0, -v45
	v_fma_f16 v31, v43, 2.0, -v49
	v_sub_f16_e32 v14, v10, v14
	v_sub_f16_e32 v13, v15, v13
	v_add_f16_e32 v11, v3, v4
	v_fma_f16 v16, v34, 2.0, -v35
	v_fma_f16 v18, v36, 2.0, -v19
	v_fma_f16 v34, v31, s11, v28
	v_fma_f16 v25, v25, 2.0, -v44
	v_fma_f16 v36, v53, 2.0, -v41
	v_sub_f16_e32 v17, v14, v13
	v_fma_f16 v27, v3, 2.0, -v11
	v_fma_f16 v34, v25, s10, v34
	v_fma_f16 v25, v25, s11, v36
	v_fma_f16 v10, v10, 2.0, -v14
	v_fma_f16 v1, v1, 2.0, -v4
	;; [unrolled: 1-line block ×5, first 2 shown]
	v_fma_f16 v25, v31, s13, v25
	v_sub_f16_e32 v1, v10, v1
	v_sub_f16_e32 v4, v3, v4
	v_lshlrev_b32_e32 v14, 4, v0
	s_movk_i32 s0, 0x700
	v_fma_f16 v42, v49, s13, v45
	v_fma_f16 v30, v44, s13, v41
	;; [unrolled: 1-line block ×3, first 2 shown]
	v_fma_f16 v28, v28, 2.0, -v34
	v_fma_f16 v31, v36, 2.0, -v25
	;; [unrolled: 1-line block ×4, first 2 shown]
	v_and_or_b32 v14, v14, s0, v39
	v_fma_f16 v42, v44, s11, v42
	v_fma_f16 v30, v49, s12, v30
	;; [unrolled: 1-line block ×4, first 2 shown]
	v_fma_f16 v29, v48, 2.0, -v2
	v_fma_f16 v37, v55, 2.0, -v12
	v_lshl_add_u32 v14, v14, 2, 0
	v_pack_b32_f16 v3, v10, v3
	v_pack_b32_f16 v10, v28, v31
	v_fma_f16 v47, v47, s13, v52
	v_fma_f16 v32, v45, 2.0, -v42
	v_fma_f16 v33, v41, 2.0, -v30
	ds_write2_b32 v14, v3, v10 offset1:16
	v_pack_b32_f16 v3, v16, v18
	v_pack_b32_f16 v10, v29, v37
	v_fma_f16 v46, v46, 2.0, -v56
	v_fma_f16 v52, v54, 2.0, -v47
	;; [unrolled: 1-line block ×4, first 2 shown]
	ds_write2_b32 v14, v3, v10 offset0:32 offset1:48
	v_pack_b32_f16 v3, v20, v27
	v_pack_b32_f16 v10, v32, v33
	ds_write2_b32 v14, v3, v10 offset0:64 offset1:80
	v_pack_b32_f16 v3, v5, v13
	v_pack_b32_f16 v5, v46, v52
	;; [unrolled: 3-line block ×6, first 2 shown]
	ds_write2_b32 v14, v1, v2 offset0:224 offset1:240
.LBB0_19:
	s_or_b64 exec, exec, s[4:5]
	v_mul_u32_u24_e32 v1, 7, v0
	v_lshlrev_b32_e32 v1, 2, v1
	s_load_dwordx2 s[2:3], s[2:3], 0x0
	s_waitcnt lgkmcnt(0)
	s_barrier
	global_load_dwordx4 v[2:5], v1, s[8:9] offset:960
	global_load_dwordx3 v[10:12], v1, s[8:9] offset:976
	ds_read2st64_b32 v[14:15], v24 offset1:4
	ds_read2st64_b32 v[16:17], v24 offset0:8 offset1:12
	ds_read2st64_b32 v[18:19], v24 offset0:24 offset1:28
	;; [unrolled: 1-line block ×3, first 2 shown]
	ds_read_u16 v1, v24 offset:6146
	s_waitcnt lgkmcnt(4)
	v_lshrrev_b32_e32 v22, 16, v15
	s_waitcnt lgkmcnt(3)
	v_lshrrev_b32_e32 v23, 16, v16
	;; [unrolled: 2-line block ×3, first 2 shown]
	v_lshrrev_b32_e32 v25, 16, v17
	s_waitcnt lgkmcnt(1)
	v_lshrrev_b32_e32 v26, 16, v20
	v_lshrrev_b32_e32 v27, 16, v21
	;; [unrolled: 1-line block ×3, first 2 shown]
	s_mov_b32 s0, 0xb9a8
	s_movk_i32 s1, 0x39a8
	s_waitcnt lgkmcnt(0)
	s_barrier
	s_add_u32 s4, s8, 0x1fc0
	s_addc_u32 s5, s9, 0
	s_waitcnt vmcnt(1)
	v_mul_f16_sdwa v29, v2, v22 dst_sel:DWORD dst_unused:UNUSED_PAD src0_sel:WORD_1 src1_sel:DWORD
	v_mul_f16_sdwa v30, v2, v15 dst_sel:DWORD dst_unused:UNUSED_PAD src0_sel:WORD_1 src1_sel:DWORD
	;; [unrolled: 1-line block ×8, first 2 shown]
	s_waitcnt vmcnt(0)
	v_mul_f16_sdwa v37, v10, v27 dst_sel:DWORD dst_unused:UNUSED_PAD src0_sel:WORD_1 src1_sel:DWORD
	v_mul_f16_sdwa v38, v10, v21 dst_sel:DWORD dst_unused:UNUSED_PAD src0_sel:WORD_1 src1_sel:DWORD
	v_mul_f16_sdwa v39, v1, v11 dst_sel:DWORD dst_unused:UNUSED_PAD src0_sel:DWORD src1_sel:WORD_1
	v_mul_f16_sdwa v40, v11, v18 dst_sel:DWORD dst_unused:UNUSED_PAD src0_sel:WORD_1 src1_sel:DWORD
	v_mul_f16_sdwa v41, v13, v12 dst_sel:DWORD dst_unused:UNUSED_PAD src0_sel:DWORD src1_sel:WORD_1
	v_mul_f16_sdwa v42, v19, v12 dst_sel:DWORD dst_unused:UNUSED_PAD src0_sel:DWORD src1_sel:WORD_1
	v_fma_f16 v15, v2, v15, -v29
	v_fma_f16 v2, v2, v22, v30
	v_fma_f16 v16, v3, v16, -v31
	v_fma_f16 v3, v3, v23, v32
	;; [unrolled: 2-line block ×7, first 2 shown]
	v_sub_f16_e32 v13, v14, v20
	v_sub_f16_e32 v5, v28, v5
	;; [unrolled: 1-line block ×8, first 2 shown]
	v_fma_f16 v14, v14, 2.0, -v13
	v_fma_f16 v20, v28, 2.0, -v5
	;; [unrolled: 1-line block ×8, first 2 shown]
	v_sub_f16_e32 v1, v13, v1
	v_add_f16_e32 v18, v5, v18
	v_sub_f16_e32 v12, v19, v12
	v_add_f16_e32 v11, v10, v11
	v_sub_f16_e32 v16, v14, v16
	v_sub_f16_e32 v3, v20, v3
	;; [unrolled: 1-line block ×4, first 2 shown]
	v_fma_f16 v13, v13, 2.0, -v1
	v_fma_f16 v5, v5, 2.0, -v18
	;; [unrolled: 1-line block ×8, first 2 shown]
	v_fma_f16 v21, v19, s0, v13
	v_fma_f16 v22, v10, s0, v5
	v_sub_f16_e32 v15, v14, v15
	v_sub_f16_e32 v2, v20, v2
	v_fma_f16 v21, v10, s0, v21
	v_fma_f16 v19, v19, s1, v22
	v_fma_f16 v10, v14, 2.0, -v15
	v_fma_f16 v14, v20, 2.0, -v2
	v_sub_f16_e32 v20, v16, v4
	v_fma_f16 v13, v13, 2.0, -v21
	v_fma_f16 v5, v5, 2.0, -v19
	;; [unrolled: 1-line block ×3, first 2 shown]
	v_fma_f16 v16, v12, s1, v1
	v_fma_f16 v22, v11, s1, v18
	v_add_f16_e32 v17, v3, v17
	v_fma_f16 v11, v11, s0, v16
	v_fma_f16 v12, v12, s1, v22
	v_pack_b32_f16 v10, v10, v14
	v_pack_b32_f16 v5, v13, v5
	v_fma_f16 v3, v3, 2.0, -v17
	v_fma_f16 v1, v1, 2.0, -v11
	;; [unrolled: 1-line block ×3, first 2 shown]
	ds_write2st64_b32 v24, v10, v5 offset1:4
	v_or_b32_e32 v10, 0x300, v0
	v_pack_b32_f16 v3, v4, v3
	v_lshl_add_u32 v4, v10, 2, 0
	v_pack_b32_f16 v1, v1, v16
	ds_write_b32 v24, v3 offset:2048
	ds_write_b32 v4, v1
	v_pack_b32_f16 v1, v15, v2
	v_pack_b32_f16 v2, v21, v19
	ds_write2st64_b32 v24, v1, v2 offset0:16 offset1:20
	v_pack_b32_f16 v1, v20, v17
	ds_write_b32 v24, v1 offset:6144
	v_lshl_add_u32 v1, v0, 2, 0
	v_pack_b32_f16 v2, v11, v12
	ds_write_b32 v1, v2 offset:7168
	s_waitcnt lgkmcnt(0)
	s_barrier
	ds_read_b32 v13, v24
	v_lshlrev_b32_e32 v1, 2, v0
	v_sub_u32_e32 v5, 0, v1
	v_cmp_ne_u32_e64 s[0:1], 0, v0
                                        ; implicit-def: $vgpr12
                                        ; implicit-def: $vgpr11
                                        ; implicit-def: $vgpr2_vgpr3
	s_and_saveexec_b64 s[8:9], s[0:1]
	s_xor_b64 s[0:1], exec, s[8:9]
	s_cbranch_execz .LBB0_21
; %bb.20:
	v_mov_b32_e32 v1, 0
	v_lshl_add_u64 v[2:3], v[0:1], 2, s[4:5]
	global_load_dword v2, v[2:3], off
	ds_read_b32 v3, v5 offset:8192
	s_waitcnt lgkmcnt(0)
	v_add_f16_e32 v11, v3, v13
	v_add_f16_sdwa v12, v3, v13 dst_sel:DWORD dst_unused:UNUSED_PAD src0_sel:WORD_1 src1_sel:WORD_1
	v_sub_f16_e32 v14, v13, v3
	v_sub_f16_sdwa v3, v13, v3 dst_sel:DWORD dst_unused:UNUSED_PAD src0_sel:WORD_1 src1_sel:WORD_1
	v_mul_f16_e32 v12, 0.5, v12
	v_mul_f16_e32 v13, 0.5, v14
	v_mul_f16_e32 v3, 0.5, v3
	s_waitcnt vmcnt(0)
	v_lshrrev_b32_e32 v14, 16, v2
	v_mul_f16_e32 v15, v14, v13
	v_fma_f16 v16, v12, v14, v3
	v_fma_f16 v3, v12, v14, -v3
	v_fma_f16 v14, v11, 0.5, v15
	v_fma_f16 v16, -v2, v13, v16
	v_fma_f16 v15, v11, 0.5, -v15
	v_fma_f16 v3, -v2, v13, v3
	v_fma_f16 v11, v2, v12, v14
	ds_write_b16 v24, v16 offset:2
	v_fma_f16 v12, -v2, v12, v15
	ds_write_b16 v5, v3 offset:8194
	v_mov_b64_e32 v[2:3], v[0:1]
                                        ; implicit-def: $vgpr13
.LBB0_21:
	s_andn2_saveexec_b64 s[0:1], s[0:1]
	s_cbranch_execz .LBB0_23
; %bb.22:
	v_mov_b32_e32 v1, 0
	ds_write_b16 v24, v1 offset:2
	ds_write_b16 v5, v1 offset:8194
	ds_read_u16 v2, v1 offset:4098
	s_waitcnt lgkmcnt(3)
	v_add_f16_sdwa v11, v13, v13 dst_sel:DWORD dst_unused:UNUSED_PAD src0_sel:WORD_1 src1_sel:DWORD
	v_sub_f16_sdwa v12, v13, v13 dst_sel:DWORD dst_unused:UNUSED_PAD src0_sel:DWORD src1_sel:WORD_1
	s_waitcnt lgkmcnt(0)
	v_xor_b32_e32 v2, 0x8000, v2
	ds_write_b16 v1, v2 offset:4098
	v_mov_b64_e32 v[2:3], 0
.LBB0_23:
	s_or_b64 exec, exec, s[0:1]
	v_lshl_add_u64 v[2:3], v[2:3], 2, s[4:5]
	global_load_dword v1, v[2:3], off offset:1024
	s_waitcnt lgkmcnt(0)
	global_load_dword v13, v[2:3], off offset:2048
	v_lshlrev_b32_e32 v2, 2, v10
	global_load_dword v2, v2, s[4:5]
	ds_write_b16 v24, v11
	ds_write_b16 v5, v12 offset:8192
	ds_read_b32 v3, v24 offset:1024
	ds_read_b32 v10, v5 offset:7168
	s_mov_b32 s0, 0xffff
	s_waitcnt lgkmcnt(0)
	v_pk_add_f16 v11, v3, v10 neg_lo:[0,1] neg_hi:[0,1]
	v_pk_add_f16 v3, v3, v10
	s_nop 0
	v_bfi_b32 v10, s0, v11, v3
	v_bfi_b32 v3, s0, v3, v11
	v_pk_mul_f16 v10, v10, 0.5 op_sel_hi:[1,0]
	v_pk_mul_f16 v11, v3, 0.5 op_sel_hi:[1,0]
	s_waitcnt vmcnt(2)
	v_pk_mul_f16 v12, v1, v10 op_sel:[1,0]
	v_pk_mul_f16 v1, v1, v10 op_sel_hi:[0,1]
	v_pk_fma_f16 v3, v3, 0.5, v12 op_sel_hi:[1,0,1]
	v_sub_f16_e32 v10, v11, v12
	v_sub_f16_sdwa v11, v12, v11 dst_sel:DWORD dst_unused:UNUSED_PAD src0_sel:WORD_1 src1_sel:WORD_1
	v_pk_add_f16 v12, v3, v1 op_sel:[0,1] op_sel_hi:[1,0]
	v_pk_add_f16 v3, v3, v1 op_sel:[0,1] op_sel_hi:[1,0] neg_lo:[0,1] neg_hi:[0,1]
	v_sub_f16_sdwa v10, v10, v1 dst_sel:DWORD dst_unused:UNUSED_PAD src0_sel:DWORD src1_sel:WORD_1
	v_sub_f16_e32 v1, v11, v1
	v_bfi_b32 v3, s0, v12, v3
	ds_write_b16 v5, v1 offset:7170
	ds_write_b32 v24, v3 offset:1024
	ds_write_b16 v5, v10 offset:7168
	ds_read_b32 v1, v24 offset:2048
	ds_read_b32 v3, v5 offset:6144
	s_waitcnt lgkmcnt(0)
	v_pk_add_f16 v10, v1, v3 neg_lo:[0,1] neg_hi:[0,1]
	v_pk_add_f16 v1, v1, v3
	s_nop 0
	v_bfi_b32 v3, s0, v10, v1
	v_bfi_b32 v1, s0, v1, v10
	v_pk_mul_f16 v3, v3, 0.5 op_sel_hi:[1,0]
	v_pk_mul_f16 v10, v1, 0.5 op_sel_hi:[1,0]
	s_waitcnt vmcnt(1)
	v_pk_mul_f16 v11, v13, v3 op_sel:[1,0]
	v_pk_mul_f16 v3, v13, v3 op_sel_hi:[0,1]
	v_pk_fma_f16 v1, v1, 0.5, v11 op_sel_hi:[1,0,1]
	v_sub_f16_e32 v12, v10, v11
	v_sub_f16_sdwa v10, v11, v10 dst_sel:DWORD dst_unused:UNUSED_PAD src0_sel:WORD_1 src1_sel:WORD_1
	v_pk_add_f16 v11, v1, v3 op_sel:[0,1] op_sel_hi:[1,0]
	v_pk_add_f16 v1, v1, v3 op_sel:[0,1] op_sel_hi:[1,0] neg_lo:[0,1] neg_hi:[0,1]
	v_sub_f16_sdwa v12, v12, v3 dst_sel:DWORD dst_unused:UNUSED_PAD src0_sel:DWORD src1_sel:WORD_1
	v_sub_f16_e32 v3, v10, v3
	v_bfi_b32 v1, s0, v11, v1
	ds_write_b16 v5, v3 offset:6146
	ds_write_b32 v24, v1 offset:2048
	ds_write_b16 v5, v12 offset:6144
	ds_read_b32 v1, v4
	ds_read_b32 v3, v5 offset:5120
	s_waitcnt lgkmcnt(0)
	v_pk_add_f16 v10, v1, v3 neg_lo:[0,1] neg_hi:[0,1]
	v_pk_add_f16 v1, v1, v3
	s_nop 0
	v_bfi_b32 v3, s0, v10, v1
	v_bfi_b32 v1, s0, v1, v10
	v_pk_mul_f16 v3, v3, 0.5 op_sel_hi:[1,0]
	v_pk_mul_f16 v10, v1, 0.5 op_sel_hi:[1,0]
	s_waitcnt vmcnt(0)
	v_pk_mul_f16 v11, v2, v3 op_sel:[1,0]
	v_pk_mul_f16 v2, v2, v3 op_sel_hi:[0,1]
	v_pk_fma_f16 v1, v1, 0.5, v11 op_sel_hi:[1,0,1]
	v_sub_f16_e32 v3, v10, v11
	v_sub_f16_sdwa v10, v11, v10 dst_sel:DWORD dst_unused:UNUSED_PAD src0_sel:WORD_1 src1_sel:WORD_1
	v_pk_add_f16 v11, v1, v2 op_sel:[0,1] op_sel_hi:[1,0]
	v_pk_add_f16 v1, v1, v2 op_sel:[0,1] op_sel_hi:[1,0] neg_lo:[0,1] neg_hi:[0,1]
	v_sub_f16_sdwa v3, v3, v2 dst_sel:DWORD dst_unused:UNUSED_PAD src0_sel:DWORD src1_sel:WORD_1
	v_sub_f16_e32 v2, v10, v2
	v_bfi_b32 v1, s0, v11, v1
	ds_write_b16 v5, v2 offset:5122
	ds_write_b32 v4, v1
	ds_write_b16 v5, v3 offset:5120
	s_waitcnt lgkmcnt(0)
	s_barrier
	s_and_saveexec_b64 s[0:1], vcc
	s_cbranch_execz .LBB0_26
; %bb.24:
	v_mul_lo_u32 v1, s3, v8
	v_mul_lo_u32 v4, s2, v9
	v_mad_u64_u32 v[2:3], s[0:1], s2, v8, 0
	v_lshl_add_u32 v10, v0, 2, 0
	v_add3_u32 v3, v3, v4, v1
	ds_read2st64_b32 v[4:5], v10 offset1:4
	v_lshl_add_u64 v[2:3], v[2:3], 2, s[6:7]
	v_mov_b32_e32 v1, 0
	v_lshl_add_u64 v[2:3], v[6:7], 2, v[2:3]
	v_lshl_add_u64 v[6:7], v[0:1], 2, v[2:3]
	ds_read2st64_b32 v[8:9], v10 offset0:8 offset1:12
	s_waitcnt lgkmcnt(1)
	global_store_dword v[6:7], v4, off
	v_add_u32_e32 v6, 0x100, v0
	v_mov_b32_e32 v7, v1
	v_lshl_add_u64 v[6:7], v[6:7], 2, v[2:3]
	global_store_dword v[6:7], v5, off
	v_add_u32_e32 v4, 0x200, v0
	v_mov_b32_e32 v5, v1
	v_lshl_add_u64 v[4:5], v[4:5], 2, v[2:3]
	ds_read2st64_b32 v[6:7], v10 offset0:16 offset1:20
	s_waitcnt lgkmcnt(1)
	global_store_dword v[4:5], v8, off
	v_add_u32_e32 v4, 0x300, v0
	v_mov_b32_e32 v5, v1
	v_lshl_add_u64 v[4:5], v[4:5], 2, v[2:3]
	global_store_dword v[4:5], v9, off
	v_add_u32_e32 v4, 0x400, v0
	v_mov_b32_e32 v5, v1
	;; [unrolled: 10-line block ×3, first 2 shown]
	v_lshl_add_u64 v[4:5], v[4:5], 2, v[2:3]
	s_waitcnt lgkmcnt(0)
	global_store_dword v[4:5], v8, off
	v_add_u32_e32 v4, 0x700, v0
	v_mov_b32_e32 v5, v1
	s_movk_i32 s0, 0xff
	v_lshl_add_u64 v[4:5], v[4:5], 2, v[2:3]
	v_cmp_eq_u32_e32 vcc, s0, v0
	global_store_dword v[4:5], v9, off
	s_and_b64 exec, exec, vcc
	s_cbranch_execz .LBB0_26
; %bb.25:
	ds_read_b32 v4, v1 offset:8192
	v_add_co_u32_e32 v0, vcc, 0x2000, v2
	s_nop 1
	v_addc_co_u32_e32 v1, vcc, 0, v3, vcc
	s_waitcnt lgkmcnt(0)
	global_store_dword v[0:1], v4, off
.LBB0_26:
	s_endpgm
	.section	.rodata,"a",@progbits
	.p2align	6, 0x0
	.amdhsa_kernel fft_rtc_fwd_len2048_factors_16_16_8_wgs_256_tpt_256_halfLds_half_op_CI_CI_unitstride_sbrr_R2C_dirReg
		.amdhsa_group_segment_fixed_size 0
		.amdhsa_private_segment_fixed_size 0
		.amdhsa_kernarg_size 104
		.amdhsa_user_sgpr_count 2
		.amdhsa_user_sgpr_dispatch_ptr 0
		.amdhsa_user_sgpr_queue_ptr 0
		.amdhsa_user_sgpr_kernarg_segment_ptr 1
		.amdhsa_user_sgpr_dispatch_id 0
		.amdhsa_user_sgpr_kernarg_preload_length 0
		.amdhsa_user_sgpr_kernarg_preload_offset 0
		.amdhsa_user_sgpr_private_segment_size 0
		.amdhsa_uses_dynamic_stack 0
		.amdhsa_enable_private_segment 0
		.amdhsa_system_sgpr_workgroup_id_x 1
		.amdhsa_system_sgpr_workgroup_id_y 0
		.amdhsa_system_sgpr_workgroup_id_z 0
		.amdhsa_system_sgpr_workgroup_info 0
		.amdhsa_system_vgpr_workitem_id 0
		.amdhsa_next_free_vgpr 57
		.amdhsa_next_free_sgpr 28
		.amdhsa_accum_offset 60
		.amdhsa_reserve_vcc 1
		.amdhsa_float_round_mode_32 0
		.amdhsa_float_round_mode_16_64 0
		.amdhsa_float_denorm_mode_32 3
		.amdhsa_float_denorm_mode_16_64 3
		.amdhsa_dx10_clamp 1
		.amdhsa_ieee_mode 1
		.amdhsa_fp16_overflow 0
		.amdhsa_tg_split 0
		.amdhsa_exception_fp_ieee_invalid_op 0
		.amdhsa_exception_fp_denorm_src 0
		.amdhsa_exception_fp_ieee_div_zero 0
		.amdhsa_exception_fp_ieee_overflow 0
		.amdhsa_exception_fp_ieee_underflow 0
		.amdhsa_exception_fp_ieee_inexact 0
		.amdhsa_exception_int_div_zero 0
	.end_amdhsa_kernel
	.text
.Lfunc_end0:
	.size	fft_rtc_fwd_len2048_factors_16_16_8_wgs_256_tpt_256_halfLds_half_op_CI_CI_unitstride_sbrr_R2C_dirReg, .Lfunc_end0-fft_rtc_fwd_len2048_factors_16_16_8_wgs_256_tpt_256_halfLds_half_op_CI_CI_unitstride_sbrr_R2C_dirReg
                                        ; -- End function
	.section	.AMDGPU.csdata,"",@progbits
; Kernel info:
; codeLenInByte = 6952
; NumSgprs: 34
; NumVgprs: 57
; NumAgprs: 0
; TotalNumVgprs: 57
; ScratchSize: 0
; MemoryBound: 0
; FloatMode: 240
; IeeeMode: 1
; LDSByteSize: 0 bytes/workgroup (compile time only)
; SGPRBlocks: 4
; VGPRBlocks: 7
; NumSGPRsForWavesPerEU: 34
; NumVGPRsForWavesPerEU: 57
; AccumOffset: 60
; Occupancy: 8
; WaveLimiterHint : 1
; COMPUTE_PGM_RSRC2:SCRATCH_EN: 0
; COMPUTE_PGM_RSRC2:USER_SGPR: 2
; COMPUTE_PGM_RSRC2:TRAP_HANDLER: 0
; COMPUTE_PGM_RSRC2:TGID_X_EN: 1
; COMPUTE_PGM_RSRC2:TGID_Y_EN: 0
; COMPUTE_PGM_RSRC2:TGID_Z_EN: 0
; COMPUTE_PGM_RSRC2:TIDIG_COMP_CNT: 0
; COMPUTE_PGM_RSRC3_GFX90A:ACCUM_OFFSET: 14
; COMPUTE_PGM_RSRC3_GFX90A:TG_SPLIT: 0
	.text
	.p2alignl 6, 3212836864
	.fill 256, 4, 3212836864
	.type	__hip_cuid_508729f0b39bc707,@object ; @__hip_cuid_508729f0b39bc707
	.section	.bss,"aw",@nobits
	.globl	__hip_cuid_508729f0b39bc707
__hip_cuid_508729f0b39bc707:
	.byte	0                               ; 0x0
	.size	__hip_cuid_508729f0b39bc707, 1

	.ident	"AMD clang version 19.0.0git (https://github.com/RadeonOpenCompute/llvm-project roc-6.4.0 25133 c7fe45cf4b819c5991fe208aaa96edf142730f1d)"
	.section	".note.GNU-stack","",@progbits
	.addrsig
	.addrsig_sym __hip_cuid_508729f0b39bc707
	.amdgpu_metadata
---
amdhsa.kernels:
  - .agpr_count:     0
    .args:
      - .actual_access:  read_only
        .address_space:  global
        .offset:         0
        .size:           8
        .value_kind:     global_buffer
      - .offset:         8
        .size:           8
        .value_kind:     by_value
      - .actual_access:  read_only
        .address_space:  global
        .offset:         16
        .size:           8
        .value_kind:     global_buffer
      - .actual_access:  read_only
        .address_space:  global
        .offset:         24
        .size:           8
        .value_kind:     global_buffer
      - .actual_access:  read_only
        .address_space:  global
        .offset:         32
        .size:           8
        .value_kind:     global_buffer
      - .offset:         40
        .size:           8
        .value_kind:     by_value
      - .actual_access:  read_only
        .address_space:  global
        .offset:         48
        .size:           8
        .value_kind:     global_buffer
      - .actual_access:  read_only
        .address_space:  global
        .offset:         56
        .size:           8
        .value_kind:     global_buffer
      - .offset:         64
        .size:           4
        .value_kind:     by_value
      - .actual_access:  read_only
        .address_space:  global
        .offset:         72
        .size:           8
        .value_kind:     global_buffer
      - .actual_access:  read_only
        .address_space:  global
        .offset:         80
        .size:           8
        .value_kind:     global_buffer
      - .actual_access:  read_only
        .address_space:  global
        .offset:         88
        .size:           8
        .value_kind:     global_buffer
      - .actual_access:  write_only
        .address_space:  global
        .offset:         96
        .size:           8
        .value_kind:     global_buffer
    .group_segment_fixed_size: 0
    .kernarg_segment_align: 8
    .kernarg_segment_size: 104
    .language:       OpenCL C
    .language_version:
      - 2
      - 0
    .max_flat_workgroup_size: 256
    .name:           fft_rtc_fwd_len2048_factors_16_16_8_wgs_256_tpt_256_halfLds_half_op_CI_CI_unitstride_sbrr_R2C_dirReg
    .private_segment_fixed_size: 0
    .sgpr_count:     34
    .sgpr_spill_count: 0
    .symbol:         fft_rtc_fwd_len2048_factors_16_16_8_wgs_256_tpt_256_halfLds_half_op_CI_CI_unitstride_sbrr_R2C_dirReg.kd
    .uniform_work_group_size: 1
    .uses_dynamic_stack: false
    .vgpr_count:     57
    .vgpr_spill_count: 0
    .wavefront_size: 64
amdhsa.target:   amdgcn-amd-amdhsa--gfx950
amdhsa.version:
  - 1
  - 2
...

	.end_amdgpu_metadata
